;; amdgpu-corpus repo=ROCm/rocFFT kind=compiled arch=gfx1100 opt=O3
	.text
	.amdgcn_target "amdgcn-amd-amdhsa--gfx1100"
	.amdhsa_code_object_version 6
	.protected	fft_rtc_fwd_len429_factors_13_3_11_wgs_117_tpt_39_half_op_CI_CI_unitstride_sbrr_dirReg ; -- Begin function fft_rtc_fwd_len429_factors_13_3_11_wgs_117_tpt_39_half_op_CI_CI_unitstride_sbrr_dirReg
	.globl	fft_rtc_fwd_len429_factors_13_3_11_wgs_117_tpt_39_half_op_CI_CI_unitstride_sbrr_dirReg
	.p2align	8
	.type	fft_rtc_fwd_len429_factors_13_3_11_wgs_117_tpt_39_half_op_CI_CI_unitstride_sbrr_dirReg,@function
fft_rtc_fwd_len429_factors_13_3_11_wgs_117_tpt_39_half_op_CI_CI_unitstride_sbrr_dirReg: ; @fft_rtc_fwd_len429_factors_13_3_11_wgs_117_tpt_39_half_op_CI_CI_unitstride_sbrr_dirReg
; %bb.0:
	s_load_b128 s[8:11], s[0:1], 0x0
	v_mul_u32_u24_e32 v1, 0x691, v0
	s_clause 0x1
	s_load_b128 s[4:7], s[0:1], 0x58
	s_load_b128 s[16:19], s[0:1], 0x18
	v_dual_mov_b32 v3, 0 :: v_dual_mov_b32 v10, 0
	v_lshrrev_b32_e32 v1, 16, v1
	s_delay_alu instid0(VALU_DEP_1) | instskip(NEXT) | instid1(VALU_DEP_3)
	v_mad_u64_u32 v[8:9], null, s15, 3, v[1:2]
	v_mov_b32_e32 v9, v3
	s_delay_alu instid0(VALU_DEP_2) | instskip(SKIP_2) | instid1(VALU_DEP_2)
	v_dual_mov_b32 v11, 0 :: v_dual_mov_b32 v4, v8
	s_waitcnt lgkmcnt(0)
	v_cmp_lt_u64_e64 s2, s[10:11], 2
	v_dual_mov_b32 v1, v10 :: v_dual_mov_b32 v2, v11
	v_mov_b32_e32 v5, v9
	s_delay_alu instid0(VALU_DEP_3)
	s_and_b32 vcc_lo, exec_lo, s2
	s_cbranch_vccnz .LBB0_8
; %bb.1:
	s_load_b64 s[2:3], s[0:1], 0x10
	v_mov_b32_e32 v10, 0
	v_dual_mov_b32 v11, 0 :: v_dual_mov_b32 v6, v8
	s_add_u32 s12, s18, 8
	s_addc_u32 s13, s19, 0
	v_mov_b32_e32 v7, v9
	s_add_u32 s14, s16, 8
	v_dual_mov_b32 v1, v10 :: v_dual_mov_b32 v2, v11
	s_addc_u32 s15, s17, 0
	s_mov_b64 s[22:23], 1
	s_waitcnt lgkmcnt(0)
	s_add_u32 s20, s2, 8
	s_addc_u32 s21, s3, 0
.LBB0_2:                                ; =>This Inner Loop Header: Depth=1
	s_load_b64 s[24:25], s[20:21], 0x0
	s_waitcnt lgkmcnt(0)
	s_delay_alu instid0(VALU_DEP_1) | instskip(NEXT) | instid1(VALU_DEP_1)
	v_or_b32_e32 v4, s25, v7
	v_cmp_ne_u64_e32 vcc_lo, 0, v[3:4]
                                        ; implicit-def: $vgpr4_vgpr5
	s_and_saveexec_b32 s2, vcc_lo
	s_delay_alu instid0(SALU_CYCLE_1)
	s_xor_b32 s3, exec_lo, s2
	s_cbranch_execz .LBB0_4
; %bb.3:                                ;   in Loop: Header=BB0_2 Depth=1
	v_cvt_f32_u32_e32 v4, s24
	v_cvt_f32_u32_e32 v5, s25
	s_sub_u32 s2, 0, s24
	s_subb_u32 s26, 0, s25
	s_delay_alu instid0(VALU_DEP_1) | instskip(NEXT) | instid1(VALU_DEP_1)
	v_fmac_f32_e32 v4, 0x4f800000, v5
	v_rcp_f32_e32 v4, v4
	s_waitcnt_depctr 0xfff
	v_mul_f32_e32 v4, 0x5f7ffffc, v4
	s_delay_alu instid0(VALU_DEP_1) | instskip(NEXT) | instid1(VALU_DEP_1)
	v_mul_f32_e32 v5, 0x2f800000, v4
	v_trunc_f32_e32 v5, v5
	s_delay_alu instid0(VALU_DEP_1) | instskip(SKIP_1) | instid1(VALU_DEP_2)
	v_fmac_f32_e32 v4, 0xcf800000, v5
	v_cvt_u32_f32_e32 v5, v5
	v_cvt_u32_f32_e32 v4, v4
	s_delay_alu instid0(VALU_DEP_2) | instskip(NEXT) | instid1(VALU_DEP_2)
	v_mul_lo_u32 v9, s2, v5
	v_mul_hi_u32 v12, s2, v4
	v_mul_lo_u32 v13, s26, v4
	s_delay_alu instid0(VALU_DEP_2) | instskip(SKIP_1) | instid1(VALU_DEP_2)
	v_add_nc_u32_e32 v9, v12, v9
	v_mul_lo_u32 v12, s2, v4
	v_add_nc_u32_e32 v9, v9, v13
	s_delay_alu instid0(VALU_DEP_2) | instskip(NEXT) | instid1(VALU_DEP_2)
	v_mul_hi_u32 v13, v4, v12
	v_mul_lo_u32 v14, v4, v9
	v_mul_hi_u32 v15, v4, v9
	v_mul_hi_u32 v16, v5, v12
	v_mul_lo_u32 v12, v5, v12
	v_mul_hi_u32 v17, v5, v9
	v_mul_lo_u32 v9, v5, v9
	v_add_co_u32 v13, vcc_lo, v13, v14
	v_add_co_ci_u32_e32 v14, vcc_lo, 0, v15, vcc_lo
	s_delay_alu instid0(VALU_DEP_2) | instskip(NEXT) | instid1(VALU_DEP_2)
	v_add_co_u32 v12, vcc_lo, v13, v12
	v_add_co_ci_u32_e32 v12, vcc_lo, v14, v16, vcc_lo
	v_add_co_ci_u32_e32 v13, vcc_lo, 0, v17, vcc_lo
	s_delay_alu instid0(VALU_DEP_2) | instskip(NEXT) | instid1(VALU_DEP_2)
	v_add_co_u32 v9, vcc_lo, v12, v9
	v_add_co_ci_u32_e32 v12, vcc_lo, 0, v13, vcc_lo
	s_delay_alu instid0(VALU_DEP_2) | instskip(NEXT) | instid1(VALU_DEP_2)
	v_add_co_u32 v4, vcc_lo, v4, v9
	v_add_co_ci_u32_e32 v5, vcc_lo, v5, v12, vcc_lo
	s_delay_alu instid0(VALU_DEP_2) | instskip(SKIP_1) | instid1(VALU_DEP_3)
	v_mul_hi_u32 v9, s2, v4
	v_mul_lo_u32 v13, s26, v4
	v_mul_lo_u32 v12, s2, v5
	s_delay_alu instid0(VALU_DEP_1) | instskip(SKIP_1) | instid1(VALU_DEP_2)
	v_add_nc_u32_e32 v9, v9, v12
	v_mul_lo_u32 v12, s2, v4
	v_add_nc_u32_e32 v9, v9, v13
	s_delay_alu instid0(VALU_DEP_2) | instskip(NEXT) | instid1(VALU_DEP_2)
	v_mul_hi_u32 v13, v4, v12
	v_mul_lo_u32 v14, v4, v9
	v_mul_hi_u32 v15, v4, v9
	v_mul_hi_u32 v16, v5, v12
	v_mul_lo_u32 v12, v5, v12
	v_mul_hi_u32 v17, v5, v9
	v_mul_lo_u32 v9, v5, v9
	v_add_co_u32 v13, vcc_lo, v13, v14
	v_add_co_ci_u32_e32 v14, vcc_lo, 0, v15, vcc_lo
	s_delay_alu instid0(VALU_DEP_2) | instskip(NEXT) | instid1(VALU_DEP_2)
	v_add_co_u32 v12, vcc_lo, v13, v12
	v_add_co_ci_u32_e32 v12, vcc_lo, v14, v16, vcc_lo
	v_add_co_ci_u32_e32 v13, vcc_lo, 0, v17, vcc_lo
	s_delay_alu instid0(VALU_DEP_2) | instskip(NEXT) | instid1(VALU_DEP_2)
	v_add_co_u32 v9, vcc_lo, v12, v9
	v_add_co_ci_u32_e32 v12, vcc_lo, 0, v13, vcc_lo
	s_delay_alu instid0(VALU_DEP_2) | instskip(NEXT) | instid1(VALU_DEP_2)
	v_add_co_u32 v9, vcc_lo, v4, v9
	v_add_co_ci_u32_e32 v16, vcc_lo, v5, v12, vcc_lo
	s_delay_alu instid0(VALU_DEP_2) | instskip(SKIP_1) | instid1(VALU_DEP_3)
	v_mul_hi_u32 v17, v6, v9
	v_mad_u64_u32 v[12:13], null, v7, v9, 0
	v_mad_u64_u32 v[4:5], null, v6, v16, 0
	;; [unrolled: 1-line block ×3, first 2 shown]
	s_delay_alu instid0(VALU_DEP_2) | instskip(NEXT) | instid1(VALU_DEP_3)
	v_add_co_u32 v4, vcc_lo, v17, v4
	v_add_co_ci_u32_e32 v5, vcc_lo, 0, v5, vcc_lo
	s_delay_alu instid0(VALU_DEP_2) | instskip(NEXT) | instid1(VALU_DEP_2)
	v_add_co_u32 v4, vcc_lo, v4, v12
	v_add_co_ci_u32_e32 v4, vcc_lo, v5, v13, vcc_lo
	v_add_co_ci_u32_e32 v5, vcc_lo, 0, v15, vcc_lo
	s_delay_alu instid0(VALU_DEP_2) | instskip(NEXT) | instid1(VALU_DEP_2)
	v_add_co_u32 v9, vcc_lo, v4, v14
	v_add_co_ci_u32_e32 v12, vcc_lo, 0, v5, vcc_lo
	s_delay_alu instid0(VALU_DEP_2) | instskip(SKIP_1) | instid1(VALU_DEP_3)
	v_mul_lo_u32 v13, s25, v9
	v_mad_u64_u32 v[4:5], null, s24, v9, 0
	v_mul_lo_u32 v14, s24, v12
	s_delay_alu instid0(VALU_DEP_2) | instskip(NEXT) | instid1(VALU_DEP_2)
	v_sub_co_u32 v4, vcc_lo, v6, v4
	v_add3_u32 v5, v5, v14, v13
	s_delay_alu instid0(VALU_DEP_1) | instskip(NEXT) | instid1(VALU_DEP_1)
	v_sub_nc_u32_e32 v13, v7, v5
	v_subrev_co_ci_u32_e64 v13, s2, s25, v13, vcc_lo
	v_add_co_u32 v14, s2, v9, 2
	s_delay_alu instid0(VALU_DEP_1) | instskip(SKIP_3) | instid1(VALU_DEP_3)
	v_add_co_ci_u32_e64 v15, s2, 0, v12, s2
	v_sub_co_u32 v16, s2, v4, s24
	v_sub_co_ci_u32_e32 v5, vcc_lo, v7, v5, vcc_lo
	v_subrev_co_ci_u32_e64 v13, s2, 0, v13, s2
	v_cmp_le_u32_e32 vcc_lo, s24, v16
	s_delay_alu instid0(VALU_DEP_3) | instskip(SKIP_1) | instid1(VALU_DEP_4)
	v_cmp_eq_u32_e64 s2, s25, v5
	v_cndmask_b32_e64 v16, 0, -1, vcc_lo
	v_cmp_le_u32_e32 vcc_lo, s25, v13
	v_cndmask_b32_e64 v17, 0, -1, vcc_lo
	v_cmp_le_u32_e32 vcc_lo, s24, v4
	;; [unrolled: 2-line block ×3, first 2 shown]
	v_cndmask_b32_e64 v18, 0, -1, vcc_lo
	v_cmp_eq_u32_e32 vcc_lo, s25, v13
	s_delay_alu instid0(VALU_DEP_2) | instskip(SKIP_3) | instid1(VALU_DEP_3)
	v_cndmask_b32_e64 v4, v18, v4, s2
	v_cndmask_b32_e32 v13, v17, v16, vcc_lo
	v_add_co_u32 v16, vcc_lo, v9, 1
	v_add_co_ci_u32_e32 v17, vcc_lo, 0, v12, vcc_lo
	v_cmp_ne_u32_e32 vcc_lo, 0, v13
	s_delay_alu instid0(VALU_DEP_2) | instskip(NEXT) | instid1(VALU_DEP_4)
	v_cndmask_b32_e32 v5, v17, v15, vcc_lo
	v_cndmask_b32_e32 v13, v16, v14, vcc_lo
	v_cmp_ne_u32_e32 vcc_lo, 0, v4
	s_delay_alu instid0(VALU_DEP_3) | instskip(NEXT) | instid1(VALU_DEP_3)
	v_cndmask_b32_e32 v5, v12, v5, vcc_lo
	v_cndmask_b32_e32 v4, v9, v13, vcc_lo
.LBB0_4:                                ;   in Loop: Header=BB0_2 Depth=1
	s_and_not1_saveexec_b32 s2, s3
	s_cbranch_execz .LBB0_6
; %bb.5:                                ;   in Loop: Header=BB0_2 Depth=1
	v_cvt_f32_u32_e32 v4, s24
	s_sub_i32 s3, 0, s24
	s_delay_alu instid0(VALU_DEP_1) | instskip(SKIP_2) | instid1(VALU_DEP_1)
	v_rcp_iflag_f32_e32 v4, v4
	s_waitcnt_depctr 0xfff
	v_mul_f32_e32 v4, 0x4f7ffffe, v4
	v_cvt_u32_f32_e32 v4, v4
	s_delay_alu instid0(VALU_DEP_1) | instskip(NEXT) | instid1(VALU_DEP_1)
	v_mul_lo_u32 v5, s3, v4
	v_mul_hi_u32 v5, v4, v5
	s_delay_alu instid0(VALU_DEP_1) | instskip(NEXT) | instid1(VALU_DEP_1)
	v_add_nc_u32_e32 v4, v4, v5
	v_mul_hi_u32 v4, v6, v4
	s_delay_alu instid0(VALU_DEP_1) | instskip(SKIP_1) | instid1(VALU_DEP_2)
	v_mul_lo_u32 v5, v4, s24
	v_add_nc_u32_e32 v9, 1, v4
	v_sub_nc_u32_e32 v5, v6, v5
	s_delay_alu instid0(VALU_DEP_1) | instskip(SKIP_1) | instid1(VALU_DEP_2)
	v_subrev_nc_u32_e32 v12, s24, v5
	v_cmp_le_u32_e32 vcc_lo, s24, v5
	v_dual_cndmask_b32 v5, v5, v12 :: v_dual_cndmask_b32 v4, v4, v9
	s_delay_alu instid0(VALU_DEP_1) | instskip(NEXT) | instid1(VALU_DEP_2)
	v_cmp_le_u32_e32 vcc_lo, s24, v5
	v_add_nc_u32_e32 v9, 1, v4
	s_delay_alu instid0(VALU_DEP_1)
	v_dual_mov_b32 v5, v3 :: v_dual_cndmask_b32 v4, v4, v9
.LBB0_6:                                ;   in Loop: Header=BB0_2 Depth=1
	s_or_b32 exec_lo, exec_lo, s2
	s_delay_alu instid0(VALU_DEP_1) | instskip(NEXT) | instid1(VALU_DEP_2)
	v_mul_lo_u32 v9, v5, s24
	v_mul_lo_u32 v14, v4, s25
	s_load_b64 s[2:3], s[14:15], 0x0
	v_mad_u64_u32 v[12:13], null, v4, s24, 0
	s_load_b64 s[24:25], s[12:13], 0x0
	s_add_u32 s22, s22, 1
	s_addc_u32 s23, s23, 0
	s_add_u32 s12, s12, 8
	s_addc_u32 s13, s13, 0
	s_add_u32 s14, s14, 8
	s_delay_alu instid0(VALU_DEP_1) | instskip(SKIP_3) | instid1(VALU_DEP_2)
	v_add3_u32 v9, v13, v14, v9
	v_sub_co_u32 v14, vcc_lo, v6, v12
	s_addc_u32 s15, s15, 0
	s_add_u32 s20, s20, 8
	v_sub_co_ci_u32_e32 v9, vcc_lo, v7, v9, vcc_lo
	s_addc_u32 s21, s21, 0
	s_waitcnt lgkmcnt(0)
	s_delay_alu instid0(VALU_DEP_1)
	v_mul_lo_u32 v15, s2, v9
	v_mul_lo_u32 v16, s3, v14
	v_mad_u64_u32 v[6:7], null, s2, v14, v[10:11]
	v_mul_lo_u32 v9, s24, v9
	v_mul_lo_u32 v17, s25, v14
	v_mad_u64_u32 v[12:13], null, s24, v14, v[1:2]
	v_cmp_ge_u64_e64 s2, s[22:23], s[10:11]
	v_add3_u32 v11, v16, v7, v15
	s_delay_alu instid0(VALU_DEP_3) | instskip(NEXT) | instid1(VALU_DEP_4)
	v_dual_mov_b32 v10, v6 :: v_dual_mov_b32 v1, v12
	v_add3_u32 v2, v17, v13, v9
	s_delay_alu instid0(VALU_DEP_4)
	s_and_b32 vcc_lo, exec_lo, s2
	s_cbranch_vccnz .LBB0_8
; %bb.7:                                ;   in Loop: Header=BB0_2 Depth=1
	v_dual_mov_b32 v7, v5 :: v_dual_mov_b32 v6, v4
	s_branch .LBB0_2
.LBB0_8:
	s_load_b64 s[0:1], s[0:1], 0x28
	s_lshl_b64 s[10:11], s[10:11], 3
	v_mul_hi_u32 v3, 0x6906907, v0
	s_add_u32 s2, s18, s10
	s_addc_u32 s3, s19, s11
	v_mov_b32_e32 v9, 0
	s_load_b64 s[2:3], s[2:3], 0x0
                                        ; implicit-def: $vgpr39
                                        ; implicit-def: $vgpr30
                                        ; implicit-def: $vgpr38
                                        ; implicit-def: $vgpr29
                                        ; implicit-def: $vgpr37
                                        ; implicit-def: $vgpr28
                                        ; implicit-def: $vgpr36
                                        ; implicit-def: $vgpr27
                                        ; implicit-def: $vgpr35
                                        ; implicit-def: $vgpr26
                                        ; implicit-def: $vgpr34
                                        ; implicit-def: $vgpr25
                                        ; implicit-def: $vgpr16
                                        ; implicit-def: $vgpr12
                                        ; implicit-def: $vgpr21
                                        ; implicit-def: $vgpr13
                                        ; implicit-def: $vgpr22
                                        ; implicit-def: $vgpr14
                                        ; implicit-def: $vgpr31
                                        ; implicit-def: $vgpr15
                                        ; implicit-def: $vgpr32
                                        ; implicit-def: $vgpr23
                                        ; implicit-def: $vgpr33
                                        ; implicit-def: $vgpr24
	s_delay_alu instid0(VALU_DEP_2) | instskip(NEXT) | instid1(VALU_DEP_1)
	v_mul_u32_u24_e32 v3, 39, v3
	v_sub_nc_u32_e32 v6, v0, v3
	v_mov_b32_e32 v3, 0
	s_waitcnt lgkmcnt(0)
	v_cmp_gt_u64_e32 vcc_lo, s[0:1], v[4:5]
	s_and_saveexec_b32 s1, vcc_lo
	s_cbranch_execz .LBB0_12
; %bb.9:
	v_cmp_gt_u32_e64 s0, 33, v6
	v_mov_b32_e32 v9, 0
                                        ; implicit-def: $vgpr24
                                        ; implicit-def: $vgpr33
                                        ; implicit-def: $vgpr23
                                        ; implicit-def: $vgpr32
                                        ; implicit-def: $vgpr15
                                        ; implicit-def: $vgpr31
                                        ; implicit-def: $vgpr14
                                        ; implicit-def: $vgpr22
                                        ; implicit-def: $vgpr13
                                        ; implicit-def: $vgpr21
                                        ; implicit-def: $vgpr12
                                        ; implicit-def: $vgpr16
                                        ; implicit-def: $vgpr25
                                        ; implicit-def: $vgpr34
                                        ; implicit-def: $vgpr26
                                        ; implicit-def: $vgpr35
                                        ; implicit-def: $vgpr27
                                        ; implicit-def: $vgpr36
                                        ; implicit-def: $vgpr28
                                        ; implicit-def: $vgpr37
                                        ; implicit-def: $vgpr29
                                        ; implicit-def: $vgpr38
                                        ; implicit-def: $vgpr30
                                        ; implicit-def: $vgpr39
	s_delay_alu instid0(VALU_DEP_2)
	s_and_saveexec_b32 s12, s0
	s_cbranch_execz .LBB0_11
; %bb.10:
	s_add_u32 s10, s16, s10
	s_addc_u32 s11, s17, s11
	v_mov_b32_e32 v7, 0
	s_load_b64 s[10:11], s[10:11], 0x0
	v_lshlrev_b64 v[9:10], 2, v[10:11]
	s_waitcnt lgkmcnt(0)
	v_mul_lo_u32 v0, s11, v4
	v_mul_lo_u32 v3, s10, v5
	v_mad_u64_u32 v[12:13], null, s10, v4, 0
	s_delay_alu instid0(VALU_DEP_1) | instskip(NEXT) | instid1(VALU_DEP_1)
	v_add3_u32 v13, v13, v3, v0
	v_lshlrev_b64 v[12:13], 2, v[12:13]
	s_delay_alu instid0(VALU_DEP_1) | instskip(NEXT) | instid1(VALU_DEP_1)
	v_add_co_u32 v0, s0, s4, v12
	v_add_co_ci_u32_e64 v3, s0, s5, v13, s0
	v_lshlrev_b64 v[11:12], 2, v[6:7]
	s_delay_alu instid0(VALU_DEP_3) | instskip(NEXT) | instid1(VALU_DEP_1)
	v_add_co_u32 v0, s0, v0, v9
	v_add_co_ci_u32_e64 v3, s0, v3, v10, s0
	s_delay_alu instid0(VALU_DEP_2) | instskip(NEXT) | instid1(VALU_DEP_1)
	v_add_co_u32 v9, s0, v0, v11
	v_add_co_ci_u32_e64 v10, s0, v3, v12, s0
	s_clause 0xc
	global_load_b32 v30, v[9:10], off offset:132
	global_load_b32 v29, v[9:10], off offset:264
	;; [unrolled: 1-line block ×12, first 2 shown]
	global_load_b32 v9, v[9:10], off
	s_waitcnt vmcnt(12)
	v_lshrrev_b32_e32 v39, 16, v30
	s_waitcnt vmcnt(11)
	v_lshrrev_b32_e32 v38, 16, v29
	;; [unrolled: 2-line block ×12, first 2 shown]
.LBB0_11:
	s_or_b32 exec_lo, exec_lo, s12
	v_mov_b32_e32 v3, v6
.LBB0_12:
	s_or_b32 exec_lo, exec_lo, s1
	v_mul_hi_u32 v0, 0xaaaaaaab, v8
	v_add_f16_e32 v51, v30, v12
	v_sub_f16_e32 v52, v30, v12
	v_add_f16_e32 v41, v39, v16
	v_sub_f16_e32 v10, v39, v16
	v_add_f16_e32 v53, v29, v13
	v_mul_f16_e32 v54, 0x388b, v51
	v_mul_f16_e32 v68, 0xba95, v52
	v_lshrrev_b32_e32 v0, 1, v0
	v_sub_f16_e32 v55, v29, v13
	s_waitcnt vmcnt(0)
	v_lshrrev_b32_e32 v11, 16, v9
	v_mul_f16_e32 v72, 0x2fb7, v51
	v_mul_f16_e32 v80, 0xb5ac, v51
	v_fmamk_f16 v7, v10, 0xba95, v54
	v_lshl_add_u32 v0, v0, 1, v0
	v_fma_f16 v17, v41, 0x388b, -v68
	v_add_f16_e32 v42, v38, v21
	v_sub_f16_e32 v40, v38, v21
	v_mul_f16_e32 v60, 0xb5ac, v53
	v_mul_f16_e32 v73, 0xbb7b, v55
	;; [unrolled: 1-line block ×3, first 2 shown]
	v_fmamk_f16 v18, v10, 0xbbf1, v72
	v_add_f16_e32 v7, v9, v7
	v_sub_nc_u32_e32 v0, v8, v0
	v_fmamk_f16 v8, v10, 0xbb7b, v80
	v_add_f16_e32 v17, v11, v17
	v_mul_f16_e32 v82, 0xbb7b, v52
	v_mul_f16_e32 v74, 0xbbc4, v53
	v_fmamk_f16 v43, v40, 0xbb7b, v60
	v_fma_f16 v44, v42, 0xb5ac, -v73
	v_mul_f16_e32 v93, 0xb9fd, v53
	v_sub_f16_e32 v58, v28, v14
	v_fma_f16 v19, v41, 0x2fb7, -v87
	v_add_f16_e32 v18, v9, v18
	v_add_f16_e32 v8, v9, v8
	v_fma_f16 v20, v41, 0xb5ac, -v82
	v_mul_f16_e32 v90, 0xb3a8, v55
	v_fmamk_f16 v45, v40, 0xb3a8, v74
	v_add_f16_e32 v7, v7, v43
	v_add_f16_e32 v17, v17, v44
	v_fmamk_f16 v43, v40, 0x394e, v93
	v_mul_f16_e32 v94, 0x394e, v55
	v_add_f16_e32 v56, v28, v14
	v_add_f16_e32 v44, v37, v22
	v_mul_f16_e32 v78, 0xb3a8, v58
	v_add_f16_e32 v19, v11, v19
	v_add_f16_e32 v20, v11, v20
	v_fma_f16 v46, v42, 0xbbc4, -v90
	v_add_f16_e32 v18, v18, v45
	v_add_f16_e32 v8, v8, v43
	v_sub_f16_e32 v43, v37, v22
	v_mul_f16_e32 v64, 0xbbc4, v56
	v_mul_f16_e32 v81, 0xb5ac, v56
	v_fma_f16 v45, v42, 0xb9fd, -v94
	v_fma_f16 v47, v44, 0xbbc4, -v78
	v_add_f16_e32 v57, v27, v15
	v_mul_f16_e32 v96, 0x3b15, v56
	v_add_f16_e32 v19, v19, v46
	v_mul_f16_e32 v92, 0x3b7b, v58
	v_fmamk_f16 v46, v43, 0xb3a8, v64
	v_fmamk_f16 v48, v43, 0x3b7b, v81
	v_add_f16_e32 v20, v20, v45
	v_add_f16_e32 v17, v17, v47
	v_sub_f16_e32 v59, v27, v15
	v_mul_f16_e32 v98, 0x3770, v58
	v_sub_f16_e32 v45, v36, v31
	v_fmamk_f16 v47, v43, 0x3770, v96
	v_mul_f16_e32 v84, 0x3b15, v57
	v_fma_f16 v49, v44, 0xb5ac, -v92
	v_add_f16_e32 v7, v7, v46
	v_add_f16_e32 v18, v18, v48
	v_mul_f16_e32 v70, 0xb9fd, v57
	v_add_f16_e32 v46, v36, v31
	v_mul_f16_e32 v83, 0x394e, v59
	v_fma_f16 v48, v44, 0x3b15, -v98
	v_add_f16_e32 v8, v8, v47
	v_fmamk_f16 v47, v45, 0x3770, v84
	v_mul_f16_e32 v95, 0x3770, v59
	v_add_f16_e32 v61, v26, v23
	v_add_f16_e32 v19, v19, v49
	v_fmamk_f16 v49, v45, 0x394e, v70
	v_fma_f16 v50, v46, 0xb9fd, -v83
	v_add_f16_e32 v20, v20, v48
	v_mul_f16_e32 v97, 0x2fb7, v57
	v_mul_f16_e32 v103, 0xbbf1, v59
	v_add_f16_e32 v18, v18, v47
	v_fma_f16 v48, v46, 0x3b15, -v95
	v_sub_f16_e32 v47, v35, v32
	v_mul_f16_e32 v71, 0x2fb7, v61
	v_add_f16_e32 v7, v7, v49
	v_add_f16_e32 v17, v17, v50
	v_fmamk_f16 v49, v45, 0xbbf1, v97
	v_fma_f16 v50, v46, 0x2fb7, -v103
	v_add_f16_e32 v19, v19, v48
	v_sub_f16_e32 v62, v26, v23
	v_fmamk_f16 v48, v47, 0x3bf1, v71
	v_mul_f16_e32 v88, 0x388b, v61
	v_mul_f16_e32 v99, 0xbbc4, v61
	v_add_f16_e32 v63, v25, v24
	v_add_f16_e32 v8, v8, v49
	;; [unrolled: 1-line block ×4, first 2 shown]
	v_mul_f16_e32 v85, 0x3bf1, v62
	v_add_f16_e32 v65, v7, v48
	v_fmamk_f16 v50, v47, 0xba95, v88
	v_fmamk_f16 v66, v47, 0x33a8, v99
	v_sub_f16_e32 v48, v34, v33
	v_mul_f16_e32 v89, 0xb9fd, v63
	v_mul_f16_e32 v102, 0x388b, v63
	v_fma_f16 v7, v49, 0x2fb7, -v85
	v_mul_f16_e32 v100, 0xba95, v62
	v_add_f16_e32 v18, v18, v50
	v_add_f16_e32 v50, v8, v66
	v_fmamk_f16 v8, v48, 0xb94e, v89
	v_fmamk_f16 v66, v48, 0x3a95, v102
	v_mul_f16_e32 v105, 0x33a8, v62
	v_sub_f16_e32 v69, v25, v24
	v_add_f16_e32 v67, v17, v7
	v_fma_f16 v17, v49, 0x388b, -v100
	v_add_f16_e32 v8, v18, v8
	v_add_f16_e32 v7, v50, v66
	v_mul_f16_e32 v86, 0x3b15, v63
	v_fma_f16 v18, v49, 0xbbc4, -v105
	v_add_f16_e32 v50, v34, v33
	v_mul_f16_e32 v91, 0x3770, v69
	v_mul_f16_e32 v101, 0xb94e, v69
	;; [unrolled: 1-line block ×3, first 2 shown]
	v_add_f16_e32 v66, v19, v17
	v_fmamk_f16 v17, v48, 0x3770, v86
	v_add_f16_e32 v18, v20, v18
	v_fma_f16 v19, v50, 0x3b15, -v91
	v_fma_f16 v20, v50, 0xb9fd, -v101
	;; [unrolled: 1-line block ×3, first 2 shown]
	v_mul_u32_u24_e32 v0, 0x1ad, v0
	v_add_f16_e32 v17, v65, v17
	v_add_f16_e32 v19, v67, v19
	;; [unrolled: 1-line block ×4, first 2 shown]
	v_lshlrev_b32_e32 v0, 2, v0
	s_mov_b32 s1, exec_lo
	v_cmpx_gt_u32_e32 33, v6
	s_cbranch_execz .LBB0_14
; %bb.13:
	v_mul_f16_e32 v106, 0xb3a8, v52
	v_mul_f16_e32 v107, 0x3770, v55
	;; [unrolled: 1-line block ×5, first 2 shown]
	v_fmamk_f16 v65, v41, 0xbbc4, v106
	v_fmamk_f16 v66, v42, 0x3b15, v107
	v_mul_f16_e32 v109, 0x3a95, v59
	v_mul_f16_e32 v79, 0x3b15, v53
	v_fmamk_f16 v67, v10, 0x33a8, v111
	v_add_f16_e32 v65, v11, v65
	v_fmamk_f16 v112, v44, 0xb9fd, v108
	v_fmamk_f16 v115, v41, 0xb9fd, v113
	v_mul_f16_e32 v116, 0x3bf1, v55
	v_mul_f16_e32 v75, 0xb9fd, v56
	v_add_f16_e32 v65, v65, v66
	v_fmamk_f16 v66, v40, 0xb770, v79
	v_add_f16_e32 v67, v9, v67
	v_fmamk_f16 v117, v46, 0x388b, v109
	v_add_f16_e32 v115, v11, v115
	v_add_f16_e32 v65, v65, v112
	v_fmamk_f16 v118, v42, 0x2fb7, v116
	v_mul_f16_e32 v119, 0xba95, v58
	v_mul_f16_e32 v110, 0xbb7b, v62
	;; [unrolled: 1-line block ×3, first 2 shown]
	v_fmamk_f16 v112, v43, 0x394e, v75
	v_add_f16_e32 v66, v67, v66
	v_add_f16_e32 v65, v65, v117
	;; [unrolled: 1-line block ×3, first 2 shown]
	v_fmamk_f16 v117, v44, 0x388b, v119
	v_mul_f16_e32 v118, 0x33a8, v59
	v_mul_f16_e32 v77, 0x3bf1, v69
	v_mul_f16_e32 v114, 0xb5ac, v61
	v_fmamk_f16 v67, v49, 0xb5ac, v110
	v_fmamk_f16 v120, v45, 0xba95, v76
	v_add_f16_e32 v66, v66, v112
	v_add_f16_e32 v115, v115, v117
	v_fmamk_f16 v117, v46, 0xbbc4, v118
	v_mul_f16_e32 v121, 0x3770, v62
	v_fmamk_f16 v112, v50, 0x2fb7, v77
	v_add_f16_e32 v66, v66, v120
	v_fmamk_f16 v120, v47, 0x3b7b, v114
	v_mul_f16_e32 v122, 0x2fb7, v63
	v_add_f16_e32 v115, v115, v117
	v_fmamk_f16 v117, v49, 0x3b15, v121
	v_mul_f16_e32 v123, 0xbb7b, v69
	v_add_f16_e32 v65, v65, v67
	v_add_f16_e32 v66, v66, v120
	v_fmamk_f16 v67, v48, 0xbbf1, v122
	v_add_f16_e32 v115, v115, v117
	v_fmamk_f16 v117, v50, 0xb5ac, v123
	v_mul_f16_e32 v120, 0xb5ac, v41
	v_add_f16_e32 v65, v65, v112
	v_mul_f16_e32 v112, 0xbb7b, v10
	v_add_f16_e32 v66, v66, v67
	v_add_f16_e32 v67, v115, v117
	;; [unrolled: 1-line block ×3, first 2 shown]
	v_mul_f16_e32 v82, 0xb9fd, v42
	v_mul_f16_e32 v117, 0x3b15, v44
	;; [unrolled: 1-line block ×3, first 2 shown]
	v_sub_f16_e32 v80, v80, v112
	v_mul_f16_e32 v112, 0x2fb7, v46
	v_add_f16_e32 v94, v82, v94
	v_add_f16_e32 v82, v117, v98
	v_sub_f16_e32 v93, v93, v120
	v_add_f16_e32 v98, v9, v80
	v_add_f16_e32 v80, v112, v103
	v_mul_f16_e32 v103, 0x2fb7, v41
	v_mul_f16_e32 v112, 0x3770, v43
	;; [unrolled: 1-line block ×3, first 2 shown]
	v_add_f16_e32 v93, v98, v93
	v_mul_f16_e32 v98, 0xbbc4, v42
	v_add_f16_e32 v87, v103, v87
	v_sub_f16_e32 v96, v96, v112
	v_add_f16_e32 v103, v117, v105
	v_mul_f16_e32 v105, 0xbbf1, v45
	v_add_f16_e32 v90, v98, v90
	v_add_f16_e32 v87, v11, v87
	;; [unrolled: 1-line block ×3, first 2 shown]
	v_mul_f16_e32 v96, 0xb5ac, v44
	v_sub_f16_e32 v97, v97, v105
	v_mul_f16_e32 v98, 0xba95, v10
	v_add_f16_e32 v87, v87, v90
	v_mul_f16_e32 v90, 0x33a8, v47
	v_add_f16_e32 v92, v96, v92
	v_add_f16_e32 v93, v93, v97
	v_mul_f16_e32 v97, 0x3b15, v46
	v_mul_f16_e32 v96, 0x388b, v41
	v_sub_f16_e32 v90, v99, v90
	v_mul_f16_e32 v99, 0xbbf1, v10
	v_add_f16_e32 v87, v87, v92
	v_add_f16_e32 v95, v97, v95
	;; [unrolled: 1-line block ×4, first 2 shown]
	v_mul_f16_e32 v93, 0x388b, v49
	v_sub_f16_e32 v72, v72, v99
	v_mul_f16_e32 v99, 0x3b7b, v43
	v_add_f16_e32 v87, v87, v95
	v_mul_f16_e32 v95, 0xb5ac, v42
	v_add_f16_e32 v93, v93, v100
	;; [unrolled: 2-line block ×3, first 2 shown]
	v_sub_f16_e32 v81, v81, v99
	v_mul_f16_e32 v99, 0xba95, v47
	v_mul_f16_e32 v92, 0x3a95, v48
	v_sub_f16_e32 v74, v74, v100
	v_mul_f16_e32 v100, 0x3770, v45
	v_add_f16_e32 v87, v87, v93
	v_mul_f16_e32 v93, 0xbbc4, v44
	v_add_f16_e32 v73, v95, v73
	v_add_f16_e32 v72, v72, v74
	v_sub_f16_e32 v84, v84, v100
	v_add_f16_e32 v68, v11, v68
	v_sub_f16_e32 v88, v88, v99
	v_sub_f16_e32 v92, v102, v92
	v_add_f16_e32 v72, v72, v81
	v_mul_f16_e32 v81, 0xb94e, v48
	v_add_f16_e32 v68, v68, v73
	v_add_f16_e32 v78, v93, v78
	v_mul_f16_e32 v100, 0xb9fd, v51
	v_add_f16_e32 v72, v72, v84
	v_sub_f16_e32 v81, v89, v81
	v_mul_f16_e32 v51, 0x3b15, v51
	v_add_f16_e32 v90, v90, v92
	v_mul_f16_e32 v92, 0xb9fd, v50
	v_add_f16_e32 v72, v72, v88
	v_mul_f16_e32 v96, 0xb9fd, v46
	v_mul_f16_e32 v95, 0x3bf1, v47
	v_add_f16_e32 v68, v68, v78
	v_mul_f16_e32 v78, 0x2fb7, v53
	v_add_f16_e32 v72, v72, v81
	v_fmamk_f16 v81, v10, 0x3770, v51
	v_mul_f16_e32 v53, 0x388b, v53
	v_add_f16_e32 v92, v92, v101
	v_mul_f16_e32 v101, 0x394e, v45
	v_mul_f16_e32 v74, 0x2fb7, v49
	v_add_f16_e32 v83, v96, v83
	v_mul_f16_e32 v96, 0x388b, v56
	v_sub_f16_e32 v54, v54, v98
	v_sub_f16_e32 v71, v71, v95
	v_add_f16_e32 v81, v9, v81
	v_fmamk_f16 v95, v40, 0x3a95, v53
	v_mul_f16_e32 v56, 0x2fb7, v56
	v_fma_f16 v98, v41, 0xbbc4, -v106
	v_add_f16_e32 v74, v74, v85
	v_mul_f16_e32 v85, 0xbbc4, v57
	v_sub_f16_e32 v70, v70, v101
	v_add_f16_e32 v81, v81, v95
	v_fmamk_f16 v95, v43, 0x3bf1, v56
	v_mul_f16_e32 v57, 0xb5ac, v57
	v_add_f16_e32 v98, v11, v98
	v_fma_f16 v101, v42, 0x3b15, -v107
	v_mul_f16_e32 v88, 0x3b15, v61
	v_add_f16_e32 v81, v81, v95
	v_fmamk_f16 v95, v45, 0x3b7b, v57
	v_mul_f16_e32 v61, 0xb9fd, v61
	v_add_f16_e32 v98, v98, v101
	v_fma_f16 v101, v44, 0xb9fd, -v108
	v_mul_f16_e32 v73, 0x3770, v48
	v_mul_f16_e32 v89, 0xb5ac, v63
	;; [unrolled: 1-line block ×3, first 2 shown]
	v_add_f16_e32 v81, v81, v95
	v_fmamk_f16 v95, v47, 0x394e, v61
	v_mul_f16_e32 v63, 0xbbc4, v63
	v_add_f16_e32 v98, v98, v101
	v_fma_f16 v101, v46, 0x388b, -v109
	v_sub_f16_e32 v73, v86, v73
	v_fmamk_f16 v86, v41, 0x3b15, v52
	v_add_f16_e32 v81, v81, v95
	v_fmamk_f16 v95, v48, 0x33a8, v63
	v_add_f16_e32 v98, v98, v101
	v_fma_f16 v101, v49, 0xb5ac, -v110
	v_fma_f16 v107, v41, 0xb9fd, -v113
	;; [unrolled: 1-line block ×3, first 2 shown]
	v_add_f16_e32 v81, v81, v95
	v_add_f16_e32 v30, v9, v30
	;; [unrolled: 1-line block ×6, first 2 shown]
	v_fmamk_f16 v84, v10, 0x394e, v100
	v_fmac_f16_e32 v111, 0xb3a8, v10
	v_fmac_f16_e32 v100, 0xb94e, v10
	;; [unrolled: 1-line block ×3, first 2 shown]
	v_add_f16_e32 v10, v11, v38
	v_add_f16_e32 v29, v30, v29
	v_mul_f16_e32 v55, 0xba95, v55
	v_mul_f16_e32 v58, 0xbbf1, v58
	;; [unrolled: 1-line block ×3, first 2 shown]
	v_add_f16_e32 v10, v10, v37
	v_add_f16_e32 v28, v29, v28
	v_fma_f16 v39, v42, 0x388b, -v55
	v_fma_f16 v30, v44, 0x2fb7, -v58
	v_add_f16_e32 v38, v9, v51
	v_add_f16_e32 v10, v10, v36
	;; [unrolled: 1-line block ×4, first 2 shown]
	v_fmac_f16_e32 v53, 0xba95, v40
	v_mul_f16_e32 v62, 0xb94e, v62
	v_add_f16_e32 v10, v10, v35
	v_add_f16_e32 v26, v27, v26
	;; [unrolled: 1-line block ×3, first 2 shown]
	v_fma_f16 v29, v46, 0xb5ac, -v59
	v_add_f16_e32 v30, v38, v53
	v_fmac_f16_e32 v56, 0xbbf1, v43
	v_add_f16_e32 v10, v10, v34
	v_mul_f16_e32 v93, 0x3b15, v50
	v_add_f16_e32 v68, v68, v83
	v_add_f16_e32 v25, v26, v25
	v_mul_f16_e32 v69, 0xb3a8, v69
	v_add_f16_e32 v11, v11, v29
	v_fma_f16 v28, v49, 0xb9fd, -v62
	v_add_f16_e32 v27, v30, v56
	v_fmac_f16_e32 v57, 0xbb7b, v45
	v_add_f16_e32 v10, v10, v33
	v_mul_f16_e32 v97, 0xbb7b, v40
	v_mul_f16_e32 v102, 0x388b, v50
	v_add_f16_e32 v68, v68, v74
	v_add_f16_e32 v91, v93, v91
	;; [unrolled: 1-line block ×4, first 2 shown]
	v_fma_f16 v26, v50, 0xbbc4, -v69
	v_add_f16_e32 v27, v27, v57
	v_fmac_f16_e32 v61, 0xb94e, v47
	v_add_f16_e32 v10, v32, v10
	v_add_f16_e32 v102, v102, v104
	v_mul_f16_e32 v104, 0xb3a8, v43
	v_add_f16_e32 v68, v68, v91
	v_sub_f16_e32 v60, v60, v97
	v_fmamk_f16 v91, v42, 0x388b, v55
	v_add_f16_e32 v23, v23, v24
	v_pack_b32_f16 v24, v54, v86
	v_fmamk_f16 v99, v40, 0xbbf1, v78
	v_add_f16_e32 v11, v11, v26
	v_add_f16_e32 v26, v27, v61
	;; [unrolled: 1-line block ×3, first 2 shown]
	v_pack_b32_f16 v27, v84, v115
	v_sub_f16_e32 v64, v64, v104
	v_fmamk_f16 v97, v44, 0x2fb7, v58
	v_add_f16_e32 v15, v15, v23
	v_pk_add_f16 v23, v9, v24
	v_pack_b32_f16 v24, v60, v91
	v_fmamk_f16 v83, v43, 0x3a95, v96
	v_add_f16_e32 v98, v9, v111
	v_add_f16_e32 v100, v9, v100
	;; [unrolled: 1-line block ×3, first 2 shown]
	v_pk_add_f16 v9, v9, v27
	v_pack_b32_f16 v22, v99, v94
	v_fmac_f16_e32 v79, 0x3770, v40
	v_fma_f16 v107, v42, 0x2fb7, -v116
	v_fmac_f16_e32 v78, 0x3bf1, v40
	v_fmamk_f16 v104, v46, 0xb5ac, v59
	v_add_f16_e32 v14, v14, v15
	v_pk_add_f16 v15, v23, v24
	v_pack_b32_f16 v23, v64, v97
	v_fmamk_f16 v74, v45, 0xb3a8, v85
	v_add_f16_e32 v10, v21, v10
	v_pk_add_f16 v9, v9, v22
	v_pack_b32_f16 v21, v83, v82
	v_add_f16_e32 v79, v98, v79
	v_fmac_f16_e32 v75, 0xb94e, v43
	v_add_f16_e32 v98, v101, v107
	v_fma_f16 v101, v44, 0x388b, -v119
	v_add_f16_e32 v78, v100, v78
	v_fmac_f16_e32 v96, 0xba95, v43
	v_fmamk_f16 v105, v49, 0xb9fd, v62
	v_add_f16_e32 v13, v13, v14
	v_pk_add_f16 v14, v15, v23
	v_pack_b32_f16 v15, v70, v104
	v_fmamk_f16 v93, v47, 0xb770, v88
	v_add_f16_e32 v10, v16, v10
	v_pk_add_f16 v9, v9, v21
	v_pack_b32_f16 v16, v74, v80
	v_add_f16_e32 v75, v79, v75
	v_fmac_f16_e32 v76, 0x3a95, v45
	v_add_f16_e32 v79, v98, v101
	v_fma_f16 v98, v46, 0xbbc4, -v118
	v_add_f16_e32 v78, v78, v96
	v_fmac_f16_e32 v85, 0x33a8, v45
	v_fmamk_f16 v106, v50, 0xbbc4, v69
	v_add_f16_e32 v12, v12, v13
	v_pk_add_f16 v13, v14, v15
	v_pack_b32_f16 v14, v71, v105
	v_add_f16_e32 v87, v87, v92
	v_fmamk_f16 v92, v48, 0x3b7b, v89
	v_pk_add_f16 v9, v9, v16
	v_pack_b32_f16 v15, v93, v103
	v_add_f16_e32 v75, v75, v76
	v_fmac_f16_e32 v114, 0xbb7b, v47
	v_fma_f16 v77, v50, 0x2fb7, -v77
	v_add_f16_e32 v76, v79, v98
	v_fma_f16 v79, v49, 0x3b15, -v121
	v_add_f16_e32 v78, v78, v85
	v_fmac_f16_e32 v88, 0x3770, v47
	v_lshlrev_b32_e32 v10, 16, v10
	v_and_b32_e32 v12, 0xffff, v12
	v_pk_add_f16 v13, v13, v14
	v_pack_b32_f16 v14, v73, v106
	v_mul_u32_u24_e32 v16, 52, v6
	v_pk_add_f16 v9, v9, v15
	v_pack_b32_f16 v15, v92, v102
	v_add_f16_e32 v75, v75, v114
	v_fmac_f16_e32 v122, 0x3bf1, v48
	v_add_f16_e32 v76, v76, v79
	v_fma_f16 v79, v50, 0xb5ac, -v123
	v_add_f16_e32 v52, v95, v77
	v_add_f16_e32 v77, v78, v88
	v_fmac_f16_e32 v89, 0xbb7b, v48
	v_fmac_f16_e32 v63, 0xb3a8, v48
	v_or_b32_e32 v10, v10, v12
	v_pk_add_f16 v12, v13, v14
	v_add3_u32 v13, 0, v16, v0
	v_pack_b32_f16 v14, v72, v87
	v_pk_add_f16 v9, v9, v15
	v_add_f16_e32 v75, v75, v122
	v_add_f16_e32 v76, v76, v79
	;; [unrolled: 1-line block ×4, first 2 shown]
	v_bfi_b32 v16, 0xffff, v81, v12
	v_pack_b32_f16 v12, v12, v68
	ds_store_2addr_b32 v13, v10, v14 offset1:3
	v_bfi_b32 v10, 0xffff, v90, v9
	v_pack_b32_f16 v9, v9, v67
	v_pack_b32_f16 v14, v75, v52
	;; [unrolled: 1-line block ×4, first 2 shown]
	v_perm_b32 v23, v18, v7, 0x5040100
	v_perm_b32 v24, v19, v17, 0x5040100
	v_perm_b32 v25, v20, v8, 0x5040100
	v_pack_b32_f16 v11, v15, v11
	ds_store_2addr_b32 v13, v16, v12 offset0:1 offset1:2
	ds_store_2addr_b32 v13, v10, v9 offset0:4 offset1:5
	;; [unrolled: 1-line block ×5, first 2 shown]
	ds_store_b32 v13, v11 offset:48
.LBB0_14:
	s_or_b32 exec_lo, exec_lo, s1
	v_lshlrev_b32_e32 v9, 2, v6
	s_waitcnt lgkmcnt(0)
	s_barrier
	buffer_gl0_inv
	v_cmp_gt_u32_e64 s0, 26, v6
	v_add3_u32 v21, 0, v9, v0
	v_add3_u32 v22, 0, v0, v9
	s_delay_alu instid0(VALU_DEP_2)
	v_add_nc_u32_e32 v11, 0x200, v21
	v_add_nc_u32_e32 v12, 0x400, v21
	ds_load_b32 v23, v22
	ds_load_2addr_b32 v[15:16], v21 offset0:143 offset1:182
	ds_load_2addr_b32 v[9:10], v21 offset0:39 offset1:78
	;; [unrolled: 1-line block ×4, first 2 shown]
	s_and_saveexec_b32 s1, s0
	s_cbranch_execz .LBB0_16
; %bb.15:
	v_add_nc_u32_e32 v7, 0x100, v21
	ds_load_b32 v17, v21 offset:1612
	ds_load_2addr_b32 v[7:8], v7 offset0:53 offset1:196
	s_waitcnt lgkmcnt(1)
	v_lshrrev_b32_e32 v19, 16, v17
	s_waitcnt lgkmcnt(0)
	v_lshrrev_b32_e32 v18, 16, v7
	v_lshrrev_b32_e32 v20, 16, v8
.LBB0_16:
	s_or_b32 exec_lo, exec_lo, s1
	v_and_b32_e32 v24, 0xff, v6
	v_add_nc_u16 v25, v6, 39
	v_add_nc_u16 v26, v6, 0x4e
	s_waitcnt lgkmcnt(3)
	v_lshrrev_b32_e32 v39, 16, v15
	s_waitcnt lgkmcnt(1)
	v_lshrrev_b32_e32 v40, 16, v14
	v_mul_lo_u16 v24, 0x4f, v24
	v_and_b32_e32 v27, 0xff, v25
	v_lshrrev_b32_e32 v41, 16, v16
	s_waitcnt lgkmcnt(0)
	v_lshrrev_b32_e32 v42, 16, v11
	v_lshrrev_b32_e32 v43, 16, v13
	v_lshrrev_b16 v30, 10, v24
	v_and_b32_e32 v24, 0xff, v26
	v_mul_lo_u16 v27, 0x4f, v27
	v_lshrrev_b32_e32 v44, 16, v12
	v_lshrrev_b32_e32 v36, 16, v23
	v_mul_lo_u16 v28, v30, 13
	v_mul_lo_u16 v24, 0x4f, v24
	v_lshrrev_b16 v31, 10, v27
	v_and_b32_e32 v30, 0xffff, v30
	v_lshrrev_b32_e32 v37, 16, v9
	v_sub_nc_u16 v27, v6, v28
	v_lshrrev_b16 v32, 10, v24
	v_mul_lo_u16 v24, v31, 13
	v_mad_u32_u24 v30, 0x9c, v30, 0
	v_and_b32_e32 v31, 0xffff, v31
	v_and_b32_e32 v33, 0xff, v27
	v_mul_lo_u16 v27, v32, 13
	v_sub_nc_u16 v24, v25, v24
	v_and_b32_e32 v32, 0xffff, v32
	v_mad_u32_u24 v31, 0x9c, v31, 0
	v_lshlrev_b32_e32 v25, 3, v33
	v_sub_nc_u16 v26, v26, v27
	v_and_b32_e32 v34, 0xff, v24
	v_lshlrev_b32_e32 v33, 2, v33
	v_mad_u32_u24 v32, 0x9c, v32, 0
	global_load_b64 v[24:25], v25, s[8:9]
	v_and_b32_e32 v35, 0xff, v26
	v_lshlrev_b32_e32 v26, 3, v34
	v_add3_u32 v30, v30, v33, v0
	v_lshlrev_b32_e32 v33, 2, v34
	v_lshrrev_b32_e32 v38, 16, v10
	v_lshlrev_b32_e32 v28, 3, v35
	v_lshlrev_b32_e32 v34, 2, v35
	s_clause 0x1
	global_load_b64 v[26:27], v26, s[8:9]
	global_load_b64 v[28:29], v28, s[8:9]
	v_add3_u32 v31, v31, v33, v0
	v_add3_u32 v32, v32, v34, v0
	s_waitcnt vmcnt(0)
	s_barrier
	buffer_gl0_inv
	v_lshrrev_b32_e32 v35, 16, v24
	v_lshrrev_b32_e32 v45, 16, v25
	s_delay_alu instid0(VALU_DEP_2) | instskip(SKIP_1) | instid1(VALU_DEP_3)
	v_mul_f16_e32 v33, v35, v39
	v_mul_f16_e32 v34, v35, v15
	;; [unrolled: 1-line block ×4, first 2 shown]
	v_lshrrev_b32_e32 v46, 16, v26
	v_lshrrev_b32_e32 v47, 16, v27
	;; [unrolled: 1-line block ×4, first 2 shown]
	v_fma_f16 v15, v24, v15, -v33
	v_fmac_f16_e32 v34, v24, v39
	v_fma_f16 v14, v25, v14, -v35
	v_fmac_f16_e32 v45, v25, v40
	v_mul_f16_e32 v24, v46, v41
	v_mul_f16_e32 v25, v46, v16
	;; [unrolled: 1-line block ×8, first 2 shown]
	v_fma_f16 v16, v26, v16, -v24
	v_fmac_f16_e32 v25, v26, v41
	v_fma_f16 v11, v27, v11, -v33
	v_fmac_f16_e32 v35, v27, v42
	;; [unrolled: 2-line block ×4, first 2 shown]
	v_add_f16_e32 v24, v23, v15
	v_add_f16_e32 v26, v15, v14
	;; [unrolled: 1-line block ×4, first 2 shown]
	v_sub_f16_e32 v27, v34, v45
	v_sub_f16_e32 v15, v15, v14
	v_add_f16_e32 v14, v24, v14
	v_fmac_f16_e32 v23, -0.5, v26
	v_add_f16_e32 v24, v28, v45
	v_fmac_f16_e32 v36, -0.5, v29
	v_add_f16_e32 v28, v16, v11
	v_sub_f16_e32 v29, v25, v35
	v_add_f16_e32 v33, v37, v25
	v_add_f16_e32 v25, v25, v35
	;; [unrolled: 1-line block ×3, first 2 shown]
	v_sub_f16_e32 v41, v40, v47
	v_add_f16_e32 v42, v38, v40
	v_add_f16_e32 v40, v40, v47
	;; [unrolled: 1-line block ×3, first 2 shown]
	v_sub_f16_e32 v16, v16, v11
	v_fmamk_f16 v43, v27, 0x3aee, v23
	v_fmac_f16_e32 v23, 0xbaee, v27
	v_fmamk_f16 v27, v15, 0xbaee, v36
	v_fma_f16 v9, -0.5, v28, v9
	v_fmac_f16_e32 v37, -0.5, v25
	v_add_f16_e32 v34, v10, v13
	v_sub_f16_e32 v13, v13, v12
	v_fmac_f16_e32 v10, -0.5, v39
	v_fmac_f16_e32 v38, -0.5, v40
	v_fmac_f16_e32 v36, 0x3aee, v15
	v_add_f16_e32 v11, v26, v11
	v_add_f16_e32 v15, v33, v35
	v_pack_b32_f16 v14, v14, v24
	v_fmamk_f16 v24, v29, 0x3aee, v9
	v_fmamk_f16 v26, v16, 0xbaee, v37
	v_pack_b32_f16 v27, v43, v27
	v_fmac_f16_e32 v9, 0xbaee, v29
	v_fmac_f16_e32 v37, 0x3aee, v16
	v_add_f16_e32 v12, v34, v12
	v_add_f16_e32 v25, v42, v47
	v_fmamk_f16 v16, v41, 0x3aee, v10
	v_fmamk_f16 v28, v13, 0xbaee, v38
	v_fmac_f16_e32 v10, 0xbaee, v41
	v_fmac_f16_e32 v38, 0x3aee, v13
	v_pack_b32_f16 v13, v23, v36
	v_pack_b32_f16 v11, v11, v15
	ds_store_2addr_b32 v30, v14, v27 offset1:13
	v_pack_b32_f16 v14, v24, v26
	v_pack_b32_f16 v9, v9, v37
	;; [unrolled: 1-line block ×5, first 2 shown]
	ds_store_b32 v30, v13 offset:104
	ds_store_2addr_b32 v31, v11, v14 offset1:13
	ds_store_b32 v31, v9 offset:104
	ds_store_2addr_b32 v32, v12, v15 offset1:13
	ds_store_b32 v32, v10 offset:104
	s_and_saveexec_b32 s1, s0
	s_cbranch_execz .LBB0_18
; %bb.17:
	v_add_nc_u16 v9, v6, 0x75
	s_delay_alu instid0(VALU_DEP_1) | instskip(NEXT) | instid1(VALU_DEP_1)
	v_and_b32_e32 v10, 0xff, v9
	v_mul_lo_u16 v10, 0x4f, v10
	s_delay_alu instid0(VALU_DEP_1) | instskip(NEXT) | instid1(VALU_DEP_1)
	v_lshrrev_b16 v11, 10, v10
	v_mul_lo_u16 v10, v11, 13
	v_and_b32_e32 v11, 0xffff, v11
	s_delay_alu instid0(VALU_DEP_2) | instskip(NEXT) | instid1(VALU_DEP_1)
	v_sub_nc_u16 v9, v9, v10
	v_and_b32_e32 v12, 0xff, v9
	s_delay_alu instid0(VALU_DEP_1) | instskip(SKIP_4) | instid1(VALU_DEP_2)
	v_lshlrev_b32_e32 v9, 3, v12
	global_load_b64 v[9:10], v9, s[8:9]
	s_waitcnt vmcnt(0)
	v_lshrrev_b32_e32 v13, 16, v9
	v_lshrrev_b32_e32 v14, 16, v10
	v_mul_f16_e32 v15, v20, v13
	v_mul_f16_e32 v13, v8, v13
	s_delay_alu instid0(VALU_DEP_3) | instskip(SKIP_1) | instid1(VALU_DEP_4)
	v_mul_f16_e32 v16, v17, v14
	v_mul_f16_e32 v14, v19, v14
	v_fma_f16 v8, v8, v9, -v15
	s_delay_alu instid0(VALU_DEP_4) | instskip(NEXT) | instid1(VALU_DEP_4)
	v_fmac_f16_e32 v13, v20, v9
	v_fmac_f16_e32 v16, v19, v10
	s_delay_alu instid0(VALU_DEP_4)
	v_fma_f16 v9, v17, v10, -v14
	v_mad_u32_u24 v10, 0x9c, v11, 0
	v_lshlrev_b32_e32 v11, 2, v12
	v_add_f16_e32 v17, v18, v13
	v_add_f16_e32 v12, v13, v16
	;; [unrolled: 1-line block ×3, first 2 shown]
	v_sub_f16_e32 v14, v8, v9
	v_add_f16_e32 v8, v7, v8
	v_sub_f16_e32 v13, v13, v16
	v_fma_f16 v12, -0.5, v12, v18
	v_fma_f16 v7, -0.5, v15, v7
	v_add_f16_e32 v15, v17, v16
	v_add_f16_e32 v8, v8, v9
	v_add3_u32 v0, v10, v11, v0
	v_fmamk_f16 v9, v14, 0x3aee, v12
	v_fmac_f16_e32 v12, 0xbaee, v14
	v_fmamk_f16 v14, v13, 0xbaee, v7
	v_fmac_f16_e32 v7, 0x3aee, v13
	v_pack_b32_f16 v8, v8, v15
	s_delay_alu instid0(VALU_DEP_3) | instskip(NEXT) | instid1(VALU_DEP_3)
	v_pack_b32_f16 v9, v14, v9
	v_pack_b32_f16 v7, v7, v12
	ds_store_2addr_b32 v0, v8, v7 offset1:13
	ds_store_b32 v0, v9 offset:104
.LBB0_18:
	s_or_b32 exec_lo, exec_lo, s1
	s_waitcnt lgkmcnt(0)
	s_barrier
	buffer_gl0_inv
	s_and_saveexec_b32 s0, vcc_lo
	s_cbranch_execz .LBB0_20
; %bb.19:
	v_mul_u32_u24_e32 v0, 10, v6
	v_mul_lo_u32 v24, s3, v4
	v_mul_lo_u32 v5, s2, v5
	v_mad_u64_u32 v[16:17], null, s2, v4, 0
	s_delay_alu instid0(VALU_DEP_4)
	v_lshlrev_b32_e32 v0, 2, v0
	v_add_nc_u32_e32 v26, 0x400, v21
	v_mov_b32_e32 v4, 0
	v_lshlrev_b64 v[1:2], 2, v[1:2]
	s_clause 0x2
	global_load_b64 v[14:15], v0, s[8:9] offset:136
	global_load_b128 v[6:9], v0, s[8:9] offset:104
	global_load_b128 v[10:13], v0, s[8:9] offset:120
	ds_load_2addr_b32 v[18:19], v21 offset0:39 offset1:78
	ds_load_b32 v0, v22
	ds_load_2addr_b32 v[22:23], v21 offset0:117 offset1:156
	v_add3_u32 v17, v17, v5, v24
	ds_load_2addr_b32 v[24:25], v26 offset0:95 offset1:134
	ds_load_2addr_b32 v[26:27], v26 offset0:17 offset1:56
	;; [unrolled: 1-line block ×3, first 2 shown]
	v_lshlrev_b64 v[3:4], 2, v[3:4]
	v_lshlrev_b64 v[16:17], 2, v[16:17]
	s_delay_alu instid0(VALU_DEP_1) | instskip(NEXT) | instid1(VALU_DEP_2)
	v_add_co_u32 v5, vcc_lo, s6, v16
	v_add_co_ci_u32_e32 v16, vcc_lo, s7, v17, vcc_lo
	s_delay_alu instid0(VALU_DEP_2) | instskip(NEXT) | instid1(VALU_DEP_2)
	v_add_co_u32 v1, vcc_lo, v5, v1
	v_add_co_ci_u32_e32 v2, vcc_lo, v16, v2, vcc_lo
	s_waitcnt lgkmcnt(5)
	v_lshrrev_b32_e32 v17, 16, v18
	s_waitcnt lgkmcnt(2)
	v_lshrrev_b32_e32 v5, 16, v25
	v_add_co_u32 v1, vcc_lo, v1, v3
	v_lshrrev_b32_e32 v16, 16, v24
	v_add_co_ci_u32_e32 v2, vcc_lo, v2, v4, vcc_lo
	v_lshrrev_b32_e32 v29, 16, v19
	v_lshrrev_b32_e32 v30, 16, v22
	;; [unrolled: 1-line block ×4, first 2 shown]
	s_waitcnt lgkmcnt(1)
	v_lshrrev_b32_e32 v35, 16, v26
	s_waitcnt lgkmcnt(0)
	v_lshrrev_b32_e32 v32, 16, v21
	v_lshrrev_b32_e32 v33, 16, v20
	;; [unrolled: 1-line block ×3, first 2 shown]
	s_waitcnt vmcnt(2)
	v_lshrrev_b32_e32 v4, 16, v15
	v_mul_f16_e32 v36, v15, v5
	s_waitcnt vmcnt(1)
	v_lshrrev_b32_e32 v37, 16, v6
	v_lshrrev_b32_e32 v3, 16, v14
	;; [unrolled: 1-line block ×4, first 2 shown]
	v_mul_f16_e32 v41, v6, v17
	v_mul_f16_e32 v42, v14, v16
	v_fmac_f16_e32 v36, v4, v25
	v_mul_f16_e32 v17, v37, v17
	v_mul_f16_e32 v4, v4, v5
	v_lshrrev_b32_e32 v40, 16, v9
	v_mul_f16_e32 v43, v7, v29
	s_waitcnt vmcnt(0)
	v_lshrrev_b32_e32 v46, 16, v12
	v_mul_f16_e32 v49, v8, v30
	v_fmac_f16_e32 v41, v37, v18
	v_fmac_f16_e32 v42, v3, v24
	v_mul_f16_e32 v5, v38, v29
	v_mul_f16_e32 v3, v3, v16
	;; [unrolled: 1-line block ×3, first 2 shown]
	v_fma_f16 v6, v6, v18, -v17
	v_fma_f16 v4, v25, v15, -v4
	v_lshrrev_b32_e32 v44, 16, v10
	v_lshrrev_b32_e32 v45, 16, v11
	;; [unrolled: 1-line block ×3, first 2 shown]
	v_mul_f16_e32 v50, v12, v35
	v_mul_f16_e32 v51, v9, v31
	v_fmac_f16_e32 v43, v38, v19
	v_fmac_f16_e32 v49, v39, v22
	v_mul_f16_e32 v30, v40, v31
	v_mul_f16_e32 v31, v46, v35
	v_fma_f16 v5, v7, v19, -v5
	v_fma_f16 v3, v24, v14, -v3
	;; [unrolled: 1-line block ×3, first 2 shown]
	v_add_f16_e32 v22, v41, v28
	v_sub_f16_e32 v24, v6, v4
	v_add_f16_e32 v35, v4, v6
	v_add_f16_e32 v6, v6, v0
	v_mul_f16_e32 v48, v13, v34
	v_mul_f16_e32 v52, v11, v32
	;; [unrolled: 1-line block ×4, first 2 shown]
	v_fmac_f16_e32 v50, v46, v26
	v_mul_f16_e32 v33, v44, v33
	v_mul_f16_e32 v32, v45, v32
	v_fma_f16 v12, v26, v12, -v31
	v_sub_f16_e32 v26, v5, v3
	v_add_f16_e32 v38, v3, v5
	v_add_f16_e32 v22, v22, v43
	;; [unrolled: 1-line block ×3, first 2 shown]
	v_fmac_f16_e32 v48, v47, v27
	v_fmac_f16_e32 v51, v40, v23
	;; [unrolled: 1-line block ×4, first 2 shown]
	v_add_f16_e32 v34, v36, v41
	v_sub_f16_e32 v17, v41, v36
	v_fma_f16 v13, v27, v13, -v29
	v_fma_f16 v9, v9, v23, -v30
	v_fma_f16 v10, v10, v20, -v33
	v_fma_f16 v11, v21, v11, -v32
	v_add_f16_e32 v6, v22, v49
	v_add_f16_e32 v5, v5, v8
	v_add_f16_e32 v15, v42, v43
	v_add_f16_e32 v7, v48, v49
	v_add_f16_e32 v14, v50, v51
	v_add_f16_e32 v16, v52, v53
	v_sub_f16_e32 v18, v43, v42
	v_mul_f16_e32 v23, 0xbbad, v34
	v_mul_f16_e32 v37, 0xb482, v17
	;; [unrolled: 1-line block ×4, first 2 shown]
	v_sub_f16_e32 v19, v49, v48
	v_sub_f16_e32 v20, v51, v50
	;; [unrolled: 1-line block ×6, first 2 shown]
	v_mul_f16_e32 v64, 0xbb47, v17
	v_add_f16_e32 v6, v6, v51
	v_add_f16_e32 v5, v5, v9
	v_mul_f16_e32 v25, 0x3abb, v15
	v_mul_f16_e32 v27, 0xb93d, v7
	;; [unrolled: 1-line block ×10, first 2 shown]
	v_fmamk_f16 v43, v24, 0x3482, v23
	v_fmamk_f16 v73, v35, 0xbbad, v37
	v_fmac_f16_e32 v23, 0xb482, v24
	v_fma_f16 v37, v35, 0xbbad, -v37
	v_mul_f16_e32 v78, 0xba0c, v24
	v_fma_f16 v83, v35, 0xb93d, -v54
	v_mul_f16_e32 v88, 0xbbeb, v24
	v_fma_f16 v93, v35, 0xb08e, -v59
	v_mul_f16_e32 v98, 0xbb47, v24
	v_mul_f16_e32 v24, 0xb853, v24
	v_add_f16_e32 v40, v13, v8
	v_mul_f16_e32 v41, 0xba0c, v19
	v_add_f16_e32 v44, v12, v9
	;; [unrolled: 2-line block ×3, first 2 shown]
	v_mul_f16_e32 v47, 0xbbeb, v21
	v_mul_f16_e32 v56, 0xb853, v19
	;; [unrolled: 1-line block ×19, first 2 shown]
	v_fma_f16 v103, v35, 0x36a6, -v64
	v_add_f16_e32 v6, v6, v53
	v_add_f16_e32 v5, v5, v10
	v_fmamk_f16 v69, v26, 0xb853, v25
	v_fmamk_f16 v70, v29, 0x3a0c, v27
	;; [unrolled: 1-line block ×5, first 2 shown]
	v_fmac_f16_e32 v25, 0x3853, v26
	v_fmac_f16_e32 v27, 0xba0c, v29
	;; [unrolled: 1-line block ×4, first 2 shown]
	v_fma_f16 v39, v38, 0x3abb, -v39
	v_fma_f16 v84, v38, 0xb08e, -v55
	v_mul_f16_e32 v90, 0x3b47, v29
	v_mul_f16_e32 v92, 0xba0c, v33
	v_fma_f16 v94, v38, 0xbbad, -v60
	v_mul_f16_e32 v99, 0xba0c, v26
	v_mul_f16_e32 v100, 0x3482, v29
	;; [unrolled: 1-line block ×4, first 2 shown]
	v_fma_f16 v104, v38, 0xb93d, -v65
	v_mul_f16_e32 v26, 0xbb47, v26
	v_mul_f16_e32 v29, 0xbbeb, v29
	v_mul_f16_e32 v31, 0xba0c, v31
	v_mul_f16_e32 v33, 0xb482, v33
	v_fma_f16 v108, v35, 0x3abb, -v17
	v_fma_f16 v109, v38, 0x36a6, -v18
	v_fmac_f16_e32 v54, 0xb93d, v35
	v_fmac_f16_e32 v55, 0xb08e, v38
	;; [unrolled: 1-line block ×8, first 2 shown]
	v_add_f16_e32 v22, v43, v28
	v_add_f16_e32 v35, v73, v0
	;; [unrolled: 1-line block ×4, first 2 shown]
	v_fmamk_f16 v38, v34, 0xb93d, v78
	v_add_f16_e32 v49, v83, v0
	v_fmamk_f16 v73, v34, 0xb08e, v88
	v_add_f16_e32 v93, v93, v0
	v_fmamk_f16 v116, v34, 0x36a6, v98
	v_fmamk_f16 v121, v34, 0x3abb, v24
	;; [unrolled: 1-line block ×5, first 2 shown]
	v_fma_f16 v41, v40, 0xb93d, -v41
	v_fma_f16 v45, v44, 0x36a6, -v45
	;; [unrolled: 1-line block ×15, first 2 shown]
	v_fmac_f16_e32 v56, 0x3abb, v40
	v_fmac_f16_e32 v57, 0xbbad, v44
	v_fmac_f16_e32 v58, 0x36a6, v46
	v_fmac_f16_e32 v61, 0x36a6, v40
	v_fmac_f16_e32 v62, 0x3abb, v44
	v_fmac_f16_e32 v63, 0xb93d, v46
	v_fmac_f16_e32 v66, 0xbbad, v40
	v_fmac_f16_e32 v67, 0xb08e, v44
	v_fmac_f16_e32 v68, 0x3abb, v46
	v_fmac_f16_e32 v19, 0xb08e, v40
	v_fmac_f16_e32 v20, 0xb93d, v44
	v_fmac_f16_e32 v21, 0xbbad, v46
	v_fmamk_f16 v40, v15, 0xb08e, v79
	v_fmamk_f16 v43, v7, 0x3abb, v80
	;; [unrolled: 1-line block ×6, first 2 shown]
	v_add_f16_e32 v103, v103, v0
	v_fma_f16 v8, v34, 0xb93d, -v78
	v_fma_f16 v51, v15, 0xb08e, -v79
	;; [unrolled: 1-line block ×10, first 2 shown]
	v_add_f16_e32 v6, v52, v6
	v_add_f16_e32 v5, v11, v5
	v_fmamk_f16 v113, v7, 0x36a6, v90
	v_fmamk_f16 v115, v16, 0xb93d, v92
	;; [unrolled: 1-line block ×10, first 2 shown]
	v_add_f16_e32 v108, v108, v0
	v_add_f16_e32 v54, v54, v0
	v_fma_f16 v88, v7, 0x36a6, -v90
	v_fma_f16 v90, v16, 0xb93d, -v92
	v_add_f16_e32 v59, v59, v0
	v_fma_f16 v92, v15, 0xb93d, -v99
	v_fma_f16 v98, v7, 0xbbad, -v100
	v_fma_f16 v99, v14, 0xb08e, -v101
	v_fma_f16 v100, v16, 0x3abb, -v102
	v_add_f16_e32 v64, v64, v0
	v_fma_f16 v15, v15, 0x36a6, -v26
	v_fma_f16 v7, v7, 0xb08e, -v29
	;; [unrolled: 1-line block ×4, first 2 shown]
	v_add_f16_e32 v0, v17, v0
	v_add_f16_e32 v17, v22, v69
	;; [unrolled: 1-line block ×97, first 2 shown]
	v_pack_b32_f16 v3, v3, v6
	v_pack_b32_f16 v4, v28, v23
	;; [unrolled: 1-line block ×11, first 2 shown]
	s_clause 0xa
	global_store_b32 v[1:2], v3, off
	global_store_b32 v[1:2], v4, off offset:156
	global_store_b32 v[1:2], v15, off offset:312
	;; [unrolled: 1-line block ×10, first 2 shown]
.LBB0_20:
	s_nop 0
	s_sendmsg sendmsg(MSG_DEALLOC_VGPRS)
	s_endpgm
	.section	.rodata,"a",@progbits
	.p2align	6, 0x0
	.amdhsa_kernel fft_rtc_fwd_len429_factors_13_3_11_wgs_117_tpt_39_half_op_CI_CI_unitstride_sbrr_dirReg
		.amdhsa_group_segment_fixed_size 0
		.amdhsa_private_segment_fixed_size 0
		.amdhsa_kernarg_size 104
		.amdhsa_user_sgpr_count 15
		.amdhsa_user_sgpr_dispatch_ptr 0
		.amdhsa_user_sgpr_queue_ptr 0
		.amdhsa_user_sgpr_kernarg_segment_ptr 1
		.amdhsa_user_sgpr_dispatch_id 0
		.amdhsa_user_sgpr_private_segment_size 0
		.amdhsa_wavefront_size32 1
		.amdhsa_uses_dynamic_stack 0
		.amdhsa_enable_private_segment 0
		.amdhsa_system_sgpr_workgroup_id_x 1
		.amdhsa_system_sgpr_workgroup_id_y 0
		.amdhsa_system_sgpr_workgroup_id_z 0
		.amdhsa_system_sgpr_workgroup_info 0
		.amdhsa_system_vgpr_workitem_id 0
		.amdhsa_next_free_vgpr 126
		.amdhsa_next_free_sgpr 27
		.amdhsa_reserve_vcc 1
		.amdhsa_float_round_mode_32 0
		.amdhsa_float_round_mode_16_64 0
		.amdhsa_float_denorm_mode_32 3
		.amdhsa_float_denorm_mode_16_64 3
		.amdhsa_dx10_clamp 1
		.amdhsa_ieee_mode 1
		.amdhsa_fp16_overflow 0
		.amdhsa_workgroup_processor_mode 1
		.amdhsa_memory_ordered 1
		.amdhsa_forward_progress 0
		.amdhsa_shared_vgpr_count 0
		.amdhsa_exception_fp_ieee_invalid_op 0
		.amdhsa_exception_fp_denorm_src 0
		.amdhsa_exception_fp_ieee_div_zero 0
		.amdhsa_exception_fp_ieee_overflow 0
		.amdhsa_exception_fp_ieee_underflow 0
		.amdhsa_exception_fp_ieee_inexact 0
		.amdhsa_exception_int_div_zero 0
	.end_amdhsa_kernel
	.text
.Lfunc_end0:
	.size	fft_rtc_fwd_len429_factors_13_3_11_wgs_117_tpt_39_half_op_CI_CI_unitstride_sbrr_dirReg, .Lfunc_end0-fft_rtc_fwd_len429_factors_13_3_11_wgs_117_tpt_39_half_op_CI_CI_unitstride_sbrr_dirReg
                                        ; -- End function
	.section	.AMDGPU.csdata,"",@progbits
; Kernel info:
; codeLenInByte = 8936
; NumSgprs: 29
; NumVgprs: 126
; ScratchSize: 0
; MemoryBound: 0
; FloatMode: 240
; IeeeMode: 1
; LDSByteSize: 0 bytes/workgroup (compile time only)
; SGPRBlocks: 3
; VGPRBlocks: 15
; NumSGPRsForWavesPerEU: 29
; NumVGPRsForWavesPerEU: 126
; Occupancy: 10
; WaveLimiterHint : 1
; COMPUTE_PGM_RSRC2:SCRATCH_EN: 0
; COMPUTE_PGM_RSRC2:USER_SGPR: 15
; COMPUTE_PGM_RSRC2:TRAP_HANDLER: 0
; COMPUTE_PGM_RSRC2:TGID_X_EN: 1
; COMPUTE_PGM_RSRC2:TGID_Y_EN: 0
; COMPUTE_PGM_RSRC2:TGID_Z_EN: 0
; COMPUTE_PGM_RSRC2:TIDIG_COMP_CNT: 0
	.text
	.p2alignl 7, 3214868480
	.fill 96, 4, 3214868480
	.type	__hip_cuid_f2c5a0fc367b817a,@object ; @__hip_cuid_f2c5a0fc367b817a
	.section	.bss,"aw",@nobits
	.globl	__hip_cuid_f2c5a0fc367b817a
__hip_cuid_f2c5a0fc367b817a:
	.byte	0                               ; 0x0
	.size	__hip_cuid_f2c5a0fc367b817a, 1

	.ident	"AMD clang version 19.0.0git (https://github.com/RadeonOpenCompute/llvm-project roc-6.4.0 25133 c7fe45cf4b819c5991fe208aaa96edf142730f1d)"
	.section	".note.GNU-stack","",@progbits
	.addrsig
	.addrsig_sym __hip_cuid_f2c5a0fc367b817a
	.amdgpu_metadata
---
amdhsa.kernels:
  - .args:
      - .actual_access:  read_only
        .address_space:  global
        .offset:         0
        .size:           8
        .value_kind:     global_buffer
      - .offset:         8
        .size:           8
        .value_kind:     by_value
      - .actual_access:  read_only
        .address_space:  global
        .offset:         16
        .size:           8
        .value_kind:     global_buffer
      - .actual_access:  read_only
        .address_space:  global
        .offset:         24
        .size:           8
        .value_kind:     global_buffer
      - .actual_access:  read_only
        .address_space:  global
        .offset:         32
        .size:           8
        .value_kind:     global_buffer
      - .offset:         40
        .size:           8
        .value_kind:     by_value
      - .actual_access:  read_only
        .address_space:  global
        .offset:         48
        .size:           8
        .value_kind:     global_buffer
      - .actual_access:  read_only
        .address_space:  global
        .offset:         56
        .size:           8
        .value_kind:     global_buffer
      - .offset:         64
        .size:           4
        .value_kind:     by_value
      - .actual_access:  read_only
        .address_space:  global
        .offset:         72
        .size:           8
        .value_kind:     global_buffer
      - .actual_access:  read_only
        .address_space:  global
        .offset:         80
        .size:           8
        .value_kind:     global_buffer
      - .actual_access:  read_only
        .address_space:  global
        .offset:         88
        .size:           8
        .value_kind:     global_buffer
      - .actual_access:  write_only
        .address_space:  global
        .offset:         96
        .size:           8
        .value_kind:     global_buffer
    .group_segment_fixed_size: 0
    .kernarg_segment_align: 8
    .kernarg_segment_size: 104
    .language:       OpenCL C
    .language_version:
      - 2
      - 0
    .max_flat_workgroup_size: 117
    .name:           fft_rtc_fwd_len429_factors_13_3_11_wgs_117_tpt_39_half_op_CI_CI_unitstride_sbrr_dirReg
    .private_segment_fixed_size: 0
    .sgpr_count:     29
    .sgpr_spill_count: 0
    .symbol:         fft_rtc_fwd_len429_factors_13_3_11_wgs_117_tpt_39_half_op_CI_CI_unitstride_sbrr_dirReg.kd
    .uniform_work_group_size: 1
    .uses_dynamic_stack: false
    .vgpr_count:     126
    .vgpr_spill_count: 0
    .wavefront_size: 32
    .workgroup_processor_mode: 1
amdhsa.target:   amdgcn-amd-amdhsa--gfx1100
amdhsa.version:
  - 1
  - 2
...

	.end_amdgpu_metadata
